;; amdgpu-corpus repo=ROCm/rocFFT kind=compiled arch=gfx1201 opt=O3
	.text
	.amdgcn_target "amdgcn-amd-amdhsa--gfx1201"
	.amdhsa_code_object_version 6
	.protected	fft_rtc_fwd_len272_factors_16_17_wgs_119_tpt_17_halfLds_half_ip_CI_unitstride_sbrr_R2C_dirReg ; -- Begin function fft_rtc_fwd_len272_factors_16_17_wgs_119_tpt_17_halfLds_half_ip_CI_unitstride_sbrr_R2C_dirReg
	.globl	fft_rtc_fwd_len272_factors_16_17_wgs_119_tpt_17_halfLds_half_ip_CI_unitstride_sbrr_R2C_dirReg
	.p2align	8
	.type	fft_rtc_fwd_len272_factors_16_17_wgs_119_tpt_17_halfLds_half_ip_CI_unitstride_sbrr_R2C_dirReg,@function
fft_rtc_fwd_len272_factors_16_17_wgs_119_tpt_17_halfLds_half_ip_CI_unitstride_sbrr_R2C_dirReg: ; @fft_rtc_fwd_len272_factors_16_17_wgs_119_tpt_17_halfLds_half_ip_CI_unitstride_sbrr_R2C_dirReg
; %bb.0:
	s_load_b128 s[4:7], s[0:1], 0x0
	v_mul_u32_u24_e32 v1, 0xf10, v0
	s_clause 0x1
	s_load_b64 s[8:9], s[0:1], 0x50
	s_load_b64 s[10:11], s[0:1], 0x18
	v_mov_b32_e32 v5, 0
	v_lshrrev_b32_e32 v1, 16, v1
	s_delay_alu instid0(VALU_DEP_1) | instskip(SKIP_3) | instid1(VALU_DEP_1)
	v_mad_co_u64_u32 v[1:2], null, ttmp9, 7, v[1:2]
	v_mov_b32_e32 v3, 0
	v_mov_b32_e32 v4, 0
	;; [unrolled: 1-line block ×4, first 2 shown]
	s_wait_kmcnt 0x0
	v_cmp_lt_u64_e64 s2, s[6:7], 2
	v_mov_b32_e32 v9, v1
	s_delay_alu instid0(VALU_DEP_2)
	s_and_b32 vcc_lo, exec_lo, s2
	s_cbranch_vccnz .LBB0_8
; %bb.1:
	s_load_b64 s[2:3], s[0:1], 0x10
	v_dual_mov_b32 v3, 0 :: v_dual_mov_b32 v8, v2
	v_dual_mov_b32 v4, 0 :: v_dual_mov_b32 v7, v1
	s_add_nc_u64 s[12:13], s[10:11], 8
	s_mov_b64 s[14:15], 1
	s_wait_kmcnt 0x0
	s_add_nc_u64 s[16:17], s[2:3], 8
	s_mov_b32 s3, 0
.LBB0_2:                                ; =>This Inner Loop Header: Depth=1
	s_load_b64 s[18:19], s[16:17], 0x0
                                        ; implicit-def: $vgpr9_vgpr10
	s_mov_b32 s2, exec_lo
	s_wait_kmcnt 0x0
	v_or_b32_e32 v6, s19, v8
	s_delay_alu instid0(VALU_DEP_1)
	v_cmpx_ne_u64_e32 0, v[5:6]
	s_wait_alu 0xfffe
	s_xor_b32 s20, exec_lo, s2
	s_cbranch_execz .LBB0_4
; %bb.3:                                ;   in Loop: Header=BB0_2 Depth=1
	s_cvt_f32_u32 s2, s18
	s_cvt_f32_u32 s21, s19
	s_sub_nc_u64 s[24:25], 0, s[18:19]
	s_wait_alu 0xfffe
	s_delay_alu instid0(SALU_CYCLE_1) | instskip(SKIP_1) | instid1(SALU_CYCLE_2)
	s_fmamk_f32 s2, s21, 0x4f800000, s2
	s_wait_alu 0xfffe
	v_s_rcp_f32 s2, s2
	s_delay_alu instid0(TRANS32_DEP_1) | instskip(SKIP_1) | instid1(SALU_CYCLE_2)
	s_mul_f32 s2, s2, 0x5f7ffffc
	s_wait_alu 0xfffe
	s_mul_f32 s21, s2, 0x2f800000
	s_wait_alu 0xfffe
	s_delay_alu instid0(SALU_CYCLE_2) | instskip(SKIP_1) | instid1(SALU_CYCLE_2)
	s_trunc_f32 s21, s21
	s_wait_alu 0xfffe
	s_fmamk_f32 s2, s21, 0xcf800000, s2
	s_cvt_u32_f32 s23, s21
	s_wait_alu 0xfffe
	s_delay_alu instid0(SALU_CYCLE_1) | instskip(SKIP_1) | instid1(SALU_CYCLE_2)
	s_cvt_u32_f32 s22, s2
	s_wait_alu 0xfffe
	s_mul_u64 s[26:27], s[24:25], s[22:23]
	s_wait_alu 0xfffe
	s_mul_hi_u32 s29, s22, s27
	s_mul_i32 s28, s22, s27
	s_mul_hi_u32 s2, s22, s26
	s_mul_i32 s30, s23, s26
	s_wait_alu 0xfffe
	s_add_nc_u64 s[28:29], s[2:3], s[28:29]
	s_mul_hi_u32 s21, s23, s26
	s_mul_hi_u32 s31, s23, s27
	s_add_co_u32 s2, s28, s30
	s_wait_alu 0xfffe
	s_add_co_ci_u32 s2, s29, s21
	s_mul_i32 s26, s23, s27
	s_add_co_ci_u32 s27, s31, 0
	s_wait_alu 0xfffe
	s_add_nc_u64 s[26:27], s[2:3], s[26:27]
	s_wait_alu 0xfffe
	v_add_co_u32 v2, s2, s22, s26
	s_delay_alu instid0(VALU_DEP_1) | instskip(SKIP_1) | instid1(VALU_DEP_1)
	s_cmp_lg_u32 s2, 0
	s_add_co_ci_u32 s23, s23, s27
	v_readfirstlane_b32 s22, v2
	s_wait_alu 0xfffe
	s_delay_alu instid0(VALU_DEP_1)
	s_mul_u64 s[24:25], s[24:25], s[22:23]
	s_wait_alu 0xfffe
	s_mul_hi_u32 s27, s22, s25
	s_mul_i32 s26, s22, s25
	s_mul_hi_u32 s2, s22, s24
	s_mul_i32 s28, s23, s24
	s_wait_alu 0xfffe
	s_add_nc_u64 s[26:27], s[2:3], s[26:27]
	s_mul_hi_u32 s21, s23, s24
	s_mul_hi_u32 s22, s23, s25
	s_wait_alu 0xfffe
	s_add_co_u32 s2, s26, s28
	s_add_co_ci_u32 s2, s27, s21
	s_mul_i32 s24, s23, s25
	s_add_co_ci_u32 s25, s22, 0
	s_wait_alu 0xfffe
	s_add_nc_u64 s[24:25], s[2:3], s[24:25]
	s_wait_alu 0xfffe
	v_add_co_u32 v2, s2, v2, s24
	s_delay_alu instid0(VALU_DEP_1) | instskip(SKIP_1) | instid1(VALU_DEP_1)
	s_cmp_lg_u32 s2, 0
	s_add_co_ci_u32 s2, s23, s25
	v_mul_hi_u32 v6, v7, v2
	s_wait_alu 0xfffe
	v_mad_co_u64_u32 v[9:10], null, v7, s2, 0
	v_mad_co_u64_u32 v[11:12], null, v8, v2, 0
	;; [unrolled: 1-line block ×3, first 2 shown]
	s_delay_alu instid0(VALU_DEP_3) | instskip(SKIP_1) | instid1(VALU_DEP_4)
	v_add_co_u32 v2, vcc_lo, v6, v9
	s_wait_alu 0xfffd
	v_add_co_ci_u32_e32 v6, vcc_lo, 0, v10, vcc_lo
	s_delay_alu instid0(VALU_DEP_2) | instskip(SKIP_1) | instid1(VALU_DEP_2)
	v_add_co_u32 v2, vcc_lo, v2, v11
	s_wait_alu 0xfffd
	v_add_co_ci_u32_e32 v2, vcc_lo, v6, v12, vcc_lo
	s_wait_alu 0xfffd
	v_add_co_ci_u32_e32 v6, vcc_lo, 0, v14, vcc_lo
	s_delay_alu instid0(VALU_DEP_2) | instskip(SKIP_1) | instid1(VALU_DEP_2)
	v_add_co_u32 v2, vcc_lo, v2, v13
	s_wait_alu 0xfffd
	v_add_co_ci_u32_e32 v6, vcc_lo, 0, v6, vcc_lo
	s_delay_alu instid0(VALU_DEP_2) | instskip(SKIP_1) | instid1(VALU_DEP_3)
	v_mul_lo_u32 v11, s19, v2
	v_mad_co_u64_u32 v[9:10], null, s18, v2, 0
	v_mul_lo_u32 v12, s18, v6
	s_delay_alu instid0(VALU_DEP_2) | instskip(NEXT) | instid1(VALU_DEP_2)
	v_sub_co_u32 v9, vcc_lo, v7, v9
	v_add3_u32 v10, v10, v12, v11
	s_delay_alu instid0(VALU_DEP_1) | instskip(SKIP_1) | instid1(VALU_DEP_1)
	v_sub_nc_u32_e32 v11, v8, v10
	s_wait_alu 0xfffd
	v_subrev_co_ci_u32_e64 v11, s2, s19, v11, vcc_lo
	v_add_co_u32 v12, s2, v2, 2
	s_wait_alu 0xf1ff
	v_add_co_ci_u32_e64 v13, s2, 0, v6, s2
	v_sub_co_u32 v14, s2, v9, s18
	v_sub_co_ci_u32_e32 v10, vcc_lo, v8, v10, vcc_lo
	s_wait_alu 0xf1ff
	v_subrev_co_ci_u32_e64 v11, s2, 0, v11, s2
	s_delay_alu instid0(VALU_DEP_3) | instskip(NEXT) | instid1(VALU_DEP_3)
	v_cmp_le_u32_e32 vcc_lo, s18, v14
	v_cmp_eq_u32_e64 s2, s19, v10
	s_wait_alu 0xfffd
	v_cndmask_b32_e64 v14, 0, -1, vcc_lo
	v_cmp_le_u32_e32 vcc_lo, s19, v11
	s_wait_alu 0xfffd
	v_cndmask_b32_e64 v15, 0, -1, vcc_lo
	v_cmp_le_u32_e32 vcc_lo, s18, v9
	;; [unrolled: 3-line block ×3, first 2 shown]
	s_wait_alu 0xfffd
	v_cndmask_b32_e64 v16, 0, -1, vcc_lo
	v_cmp_eq_u32_e32 vcc_lo, s19, v11
	s_wait_alu 0xf1ff
	s_delay_alu instid0(VALU_DEP_2)
	v_cndmask_b32_e64 v9, v16, v9, s2
	s_wait_alu 0xfffd
	v_cndmask_b32_e32 v11, v15, v14, vcc_lo
	v_add_co_u32 v14, vcc_lo, v2, 1
	s_wait_alu 0xfffd
	v_add_co_ci_u32_e32 v15, vcc_lo, 0, v6, vcc_lo
	s_delay_alu instid0(VALU_DEP_3) | instskip(SKIP_1) | instid1(VALU_DEP_2)
	v_cmp_ne_u32_e32 vcc_lo, 0, v11
	s_wait_alu 0xfffd
	v_dual_cndmask_b32 v10, v15, v13 :: v_dual_cndmask_b32 v11, v14, v12
	v_cmp_ne_u32_e32 vcc_lo, 0, v9
	s_wait_alu 0xfffd
	s_delay_alu instid0(VALU_DEP_2) | instskip(NEXT) | instid1(VALU_DEP_3)
	v_cndmask_b32_e32 v10, v6, v10, vcc_lo
	v_cndmask_b32_e32 v9, v2, v11, vcc_lo
.LBB0_4:                                ;   in Loop: Header=BB0_2 Depth=1
	s_wait_alu 0xfffe
	s_and_not1_saveexec_b32 s2, s20
	s_cbranch_execz .LBB0_6
; %bb.5:                                ;   in Loop: Header=BB0_2 Depth=1
	v_cvt_f32_u32_e32 v2, s18
	s_sub_co_i32 s20, 0, s18
	s_delay_alu instid0(VALU_DEP_1) | instskip(NEXT) | instid1(TRANS32_DEP_1)
	v_rcp_iflag_f32_e32 v2, v2
	v_mul_f32_e32 v2, 0x4f7ffffe, v2
	s_delay_alu instid0(VALU_DEP_1) | instskip(SKIP_1) | instid1(VALU_DEP_1)
	v_cvt_u32_f32_e32 v2, v2
	s_wait_alu 0xfffe
	v_mul_lo_u32 v6, s20, v2
	s_delay_alu instid0(VALU_DEP_1) | instskip(NEXT) | instid1(VALU_DEP_1)
	v_mul_hi_u32 v6, v2, v6
	v_add_nc_u32_e32 v2, v2, v6
	s_delay_alu instid0(VALU_DEP_1) | instskip(NEXT) | instid1(VALU_DEP_1)
	v_mul_hi_u32 v2, v7, v2
	v_mul_lo_u32 v6, v2, s18
	v_add_nc_u32_e32 v9, 1, v2
	s_delay_alu instid0(VALU_DEP_2) | instskip(NEXT) | instid1(VALU_DEP_1)
	v_sub_nc_u32_e32 v6, v7, v6
	v_subrev_nc_u32_e32 v10, s18, v6
	v_cmp_le_u32_e32 vcc_lo, s18, v6
	s_wait_alu 0xfffd
	s_delay_alu instid0(VALU_DEP_2) | instskip(SKIP_2) | instid1(VALU_DEP_3)
	v_cndmask_b32_e32 v6, v6, v10, vcc_lo
	v_mov_b32_e32 v10, v5
	v_cndmask_b32_e32 v2, v2, v9, vcc_lo
	v_cmp_le_u32_e32 vcc_lo, s18, v6
	s_delay_alu instid0(VALU_DEP_2) | instskip(SKIP_1) | instid1(VALU_DEP_1)
	v_add_nc_u32_e32 v9, 1, v2
	s_wait_alu 0xfffd
	v_cndmask_b32_e32 v9, v2, v9, vcc_lo
.LBB0_6:                                ;   in Loop: Header=BB0_2 Depth=1
	s_wait_alu 0xfffe
	s_or_b32 exec_lo, exec_lo, s2
	s_load_b64 s[20:21], s[12:13], 0x0
	v_mul_lo_u32 v2, v10, s18
	v_mul_lo_u32 v6, v9, s19
	v_mad_co_u64_u32 v[11:12], null, v9, s18, 0
	s_add_nc_u64 s[14:15], s[14:15], 1
	s_add_nc_u64 s[12:13], s[12:13], 8
	s_wait_alu 0xfffe
	v_cmp_ge_u64_e64 s2, s[14:15], s[6:7]
	s_add_nc_u64 s[16:17], s[16:17], 8
	s_delay_alu instid0(VALU_DEP_2) | instskip(NEXT) | instid1(VALU_DEP_3)
	v_add3_u32 v2, v12, v6, v2
	v_sub_co_u32 v6, vcc_lo, v7, v11
	s_wait_alu 0xfffd
	s_delay_alu instid0(VALU_DEP_2) | instskip(SKIP_3) | instid1(VALU_DEP_2)
	v_sub_co_ci_u32_e32 v2, vcc_lo, v8, v2, vcc_lo
	s_and_b32 vcc_lo, exec_lo, s2
	s_wait_kmcnt 0x0
	v_mul_lo_u32 v7, s21, v6
	v_mul_lo_u32 v2, s20, v2
	v_mad_co_u64_u32 v[3:4], null, s20, v6, v[3:4]
	s_delay_alu instid0(VALU_DEP_1)
	v_add3_u32 v4, v7, v4, v2
	s_wait_alu 0xfffe
	s_cbranch_vccnz .LBB0_8
; %bb.7:                                ;   in Loop: Header=BB0_2 Depth=1
	v_dual_mov_b32 v7, v9 :: v_dual_mov_b32 v8, v10
	s_branch .LBB0_2
.LBB0_8:
	v_mul_hi_u32 v2, 0x24924925, v1
	s_lshl_b64 s[2:3], s[6:7], 3
	s_load_b64 s[0:1], s[0:1], 0x20
	s_add_nc_u64 s[2:3], s[10:11], s[2:3]
	s_load_b64 s[2:3], s[2:3], 0x0
	s_delay_alu instid0(VALU_DEP_1) | instskip(NEXT) | instid1(VALU_DEP_1)
	v_sub_nc_u32_e32 v5, v1, v2
	v_lshrrev_b32_e32 v5, 1, v5
	s_delay_alu instid0(VALU_DEP_1) | instskip(SKIP_3) | instid1(VALU_DEP_3)
	v_add_nc_u32_e32 v2, v5, v2
	v_mul_hi_u32 v5, 0xf0f0f10, v0
	s_wait_kmcnt 0x0
	v_cmp_gt_u64_e32 vcc_lo, s[0:1], v[9:10]
	v_lshrrev_b32_e32 v2, 2, v2
	v_mul_lo_u32 v7, s2, v10
	v_mul_lo_u32 v8, s3, v9
	s_delay_alu instid0(VALU_DEP_3) | instskip(SKIP_2) | instid1(VALU_DEP_1)
	v_mul_lo_u32 v6, v2, 7
	v_mad_co_u64_u32 v[2:3], null, s2, v9, v[3:4]
	v_mul_u32_u24_e32 v4, 17, v5
	v_sub_nc_u32_e32 v0, v0, v4
	s_delay_alu instid0(VALU_DEP_4) | instskip(NEXT) | instid1(VALU_DEP_4)
	v_sub_nc_u32_e32 v1, v1, v6
	v_add3_u32 v3, v8, v3, v7
	s_delay_alu instid0(VALU_DEP_3) | instskip(NEXT) | instid1(VALU_DEP_3)
	v_lshlrev_b32_e32 v22, 2, v0
	v_mul_u32_u24_e32 v1, 0x111, v1
	s_delay_alu instid0(VALU_DEP_3) | instskip(NEXT) | instid1(VALU_DEP_2)
	v_lshlrev_b64_e32 v[2:3], 2, v[2:3]
	v_lshlrev_b32_e32 v19, 2, v1
	s_and_saveexec_b32 s1, vcc_lo
	s_cbranch_execz .LBB0_10
; %bb.9:
	v_mov_b32_e32 v1, 0
	s_delay_alu instid0(VALU_DEP_1) | instskip(SKIP_3) | instid1(VALU_DEP_2)
	v_lshlrev_b64_e32 v[4:5], 2, v[0:1]
	v_add_co_u32 v1, s0, s8, v2
	s_wait_alu 0xf1ff
	v_add_co_ci_u32_e64 v6, s0, s9, v3, s0
	v_add_co_u32 v4, s0, v1, v4
	s_wait_alu 0xf1ff
	s_delay_alu instid0(VALU_DEP_2)
	v_add_co_ci_u32_e64 v5, s0, v6, v5, s0
	s_clause 0xf
	global_load_b32 v1, v[4:5], off
	global_load_b32 v6, v[4:5], off offset:68
	global_load_b32 v7, v[4:5], off offset:136
	;; [unrolled: 1-line block ×15, first 2 shown]
	v_add3_u32 v5, 0, v19, v22
	s_wait_loadcnt 0xe
	ds_store_2addr_b32 v5, v1, v6 offset1:17
	s_wait_loadcnt 0xc
	ds_store_2addr_b32 v5, v7, v8 offset0:34 offset1:51
	s_wait_loadcnt 0xa
	ds_store_2addr_b32 v5, v9, v10 offset0:68 offset1:85
	;; [unrolled: 2-line block ×7, first 2 shown]
.LBB0_10:
	s_wait_alu 0xfffe
	s_or_b32 exec_lo, exec_lo, s1
	v_add_nc_u32_e32 v24, 0, v22
	v_add_nc_u32_e32 v21, 0, v19
	global_wb scope:SCOPE_SE
	s_wait_dscnt 0x0
	s_barrier_signal -1
	s_barrier_wait -1
	v_add_nc_u32_e32 v1, v24, v19
	v_add_nc_u32_e32 v20, v21, v22
	global_inv scope:SCOPE_SE
	v_mad_u32_u24 v24, v0, 60, v24
	v_cmp_gt_u32_e64 s0, 16, v0
	ds_load_2addr_b32 v[4:5], v1 offset0:17 offset1:34
	ds_load_2addr_b32 v[6:7], v1 offset0:51 offset1:68
	;; [unrolled: 1-line block ×4, first 2 shown]
	ds_load_b32 v18, v20
	ds_load_2addr_b32 v[12:13], v1 offset0:187 offset1:204
	ds_load_2addr_b32 v[14:15], v1 offset0:153 offset1:170
	;; [unrolled: 1-line block ×3, first 2 shown]
	ds_load_b32 v23, v1 offset:1020
	global_wb scope:SCOPE_SE
	s_wait_dscnt 0x0
	s_barrier_signal -1
	s_barrier_wait -1
	global_inv scope:SCOPE_SE
	v_pk_add_f16 v11, v18, v11 neg_lo:[0,1] neg_hi:[0,1]
	v_pk_add_f16 v13, v7, v13 neg_lo:[0,1] neg_hi:[0,1]
	;; [unrolled: 1-line block ×8, first 2 shown]
	v_pk_fma_f16 v18, v18, 2.0, v11 op_sel_hi:[1,0,1] neg_lo:[0,0,1] neg_hi:[0,0,1]
	v_pk_fma_f16 v7, v7, 2.0, v13 op_sel_hi:[1,0,1] neg_lo:[0,0,1] neg_hi:[0,0,1]
	;; [unrolled: 1-line block ×4, first 2 shown]
	v_lshrrev_b32_e32 v25, 16, v13
	v_lshrrev_b32_e32 v26, 16, v11
	;; [unrolled: 1-line block ×6, first 2 shown]
	v_pk_add_f16 v7, v18, v7 neg_lo:[0,1] neg_hi:[0,1]
	v_sub_f16_e32 v25, v11, v25
	v_add_f16_e32 v13, v26, v13
	v_pk_add_f16 v9, v5, v9 neg_lo:[0,1] neg_hi:[0,1]
	v_sub_f16_e32 v27, v15, v27
	v_add_f16_e32 v17, v28, v17
	v_lshrrev_b32_e32 v30, 16, v14
	v_sub_f16_e32 v29, v14, v29
	v_lshrrev_b32_e32 v32, 16, v12
	v_sub_f16_e32 v31, v12, v31
	v_pk_fma_f16 v4, v4, 2.0, v14 op_sel_hi:[1,0,1] neg_lo:[0,0,1] neg_hi:[0,0,1]
	v_pk_fma_f16 v8, v8, 2.0, v16 op_sel_hi:[1,0,1] neg_lo:[0,0,1] neg_hi:[0,0,1]
	;; [unrolled: 1-line block ×5, first 2 shown]
	v_fma_f16 v11, v11, 2.0, -v25
	v_pk_fma_f16 v5, v5, 2.0, v9 op_sel_hi:[1,0,1] neg_lo:[0,0,1] neg_hi:[0,0,1]
	v_fma_f16 v15, v15, 2.0, -v27
	v_add_f16_e32 v16, v30, v16
	v_fma_f16 v14, v14, 2.0, -v29
	v_add_f16_e32 v23, v32, v23
	v_fma_f16 v12, v12, 2.0, -v31
	v_fmamk_f16 v36, v17, 0x39a8, v13
	v_pk_add_f16 v8, v4, v8 neg_lo:[0,1] neg_hi:[0,1]
	v_pk_add_f16 v10, v6, v10 neg_lo:[0,1] neg_hi:[0,1]
	v_fma_f16 v26, v26, 2.0, -v13
	v_fma_f16 v28, v28, 2.0, -v17
	;; [unrolled: 1-line block ×3, first 2 shown]
	v_fmamk_f16 v33, v15, 0xb9a8, v11
	v_pk_add_f16 v34, v18, v5 neg_lo:[0,1] neg_hi:[0,1]
	v_fma_f16 v5, v32, 2.0, -v23
	v_fmamk_f16 v32, v27, 0x39a8, v25
	v_fmac_f16_e32 v36, 0x39a8, v27
	v_fmamk_f16 v27, v12, 0xb9a8, v14
	v_pk_fma_f16 v4, v4, 2.0, v8 op_sel_hi:[1,0,1] neg_lo:[0,0,1] neg_hi:[0,0,1]
	v_pk_fma_f16 v6, v6, 2.0, v10 op_sel_hi:[1,0,1] neg_lo:[0,0,1] neg_hi:[0,0,1]
	v_fmamk_f16 v35, v28, 0xb9a8, v26
	v_fmac_f16_e32 v33, 0xb9a8, v28
	v_lshrrev_b32_e32 v28, 16, v9
	v_fmamk_f16 v38, v5, 0xb9a8, v30
	v_fmac_f16_e32 v27, 0xb9a8, v5
	v_lshrrev_b32_e32 v5, 16, v10
	v_fmac_f16_e32 v32, 0xb9a8, v17
	v_pk_add_f16 v17, v4, v6 neg_lo:[0,1] neg_hi:[0,1]
	v_fmamk_f16 v51, v23, 0x39a8, v16
	v_fmac_f16_e32 v35, 0x39a8, v15
	v_lshrrev_b32_e32 v15, 16, v7
	v_sub_f16_e32 v28, v7, v28
	v_lshrrev_b32_e32 v6, 16, v8
	v_fmamk_f16 v39, v31, 0x39a8, v29
	v_sub_f16_e32 v40, v8, v5
	v_pk_fma_f16 v18, v18, 2.0, v34 op_sel_hi:[1,0,1] neg_lo:[0,0,1] neg_hi:[0,0,1]
	v_pk_fma_f16 v4, v4, 2.0, v17 op_sel_hi:[1,0,1] neg_lo:[0,0,1] neg_hi:[0,0,1]
	v_fmac_f16_e32 v51, 0x39a8, v31
	v_add_f16_e32 v37, v15, v9
	v_fma_f16 v9, v26, 2.0, -v35
	v_fma_f16 v26, v7, 2.0, -v28
	v_fmac_f16_e32 v38, 0x39a8, v12
	v_fma_f16 v12, v14, 2.0, -v27
	v_add_f16_e32 v46, v6, v10
	v_fmac_f16_e32 v39, 0xb9a8, v23
	v_fma_f16 v14, v8, 2.0, -v40
	v_fma_f16 v13, v13, 2.0, -v36
	v_pk_add_f16 v5, v18, v4 neg_lo:[0,1] neg_hi:[0,1]
	v_fma_f16 v4, v16, 2.0, -v51
	v_fma_f16 v15, v15, 2.0, -v37
	;; [unrolled: 1-line block ×6, first 2 shown]
	v_fmamk_f16 v7, v14, 0xb9a8, v26
	v_fmamk_f16 v41, v4, 0xb61f, v13
	v_fma_f16 v11, v11, 2.0, -v33
	v_fmamk_f16 v47, v10, 0xbb64, v9
	v_fmamk_f16 v48, v8, 0xb9a8, v15
	v_fmac_f16_e32 v7, 0xb9a8, v8
	v_fmamk_f16 v8, v29, 0xb61f, v25
	v_fmac_f16_e32 v41, 0x3b64, v29
	;; [unrolled: 2-line block ×3, first 2 shown]
	v_lshrrev_b32_e32 v16, 16, v34
	v_fmac_f16_e32 v8, 0xbb64, v4
	v_lshrrev_b32_e32 v4, 16, v17
	v_fmamk_f16 v12, v27, 0x361f, v33
	v_fmamk_f16 v49, v38, 0x361f, v35
	v_pk_fma_f16 v23, v18, 2.0, v5 op_sel_hi:[1,0,1] neg_lo:[0,0,1] neg_hi:[0,0,1]
	v_fma_f16 v52, v13, 2.0, -v41
	v_fmamk_f16 v13, v40, 0x39a8, v28
	v_fmamk_f16 v50, v46, 0x39a8, v37
	;; [unrolled: 1-line block ×4, first 2 shown]
	v_fmac_f16_e32 v6, 0xb61f, v10
	v_fmac_f16_e32 v48, 0x39a8, v14
	v_fma_f16 v43, v9, 2.0, -v47
	v_sub_f16_e32 v9, v34, v4
	v_add_f16_e32 v42, v16, v17
	v_fmac_f16_e32 v12, 0xbb64, v38
	v_fmac_f16_e32 v49, 0x3b64, v27
	;; [unrolled: 1-line block ×6, first 2 shown]
	v_fma_f16 v10, v11, 2.0, -v6
	v_fma_f16 v11, v26, 2.0, -v7
	v_fma_f16 v44, v15, 2.0, -v48
	v_fma_f16 v14, v25, 2.0, -v8
	v_fma_f16 v15, v34, 2.0, -v9
	v_fma_f16 v53, v16, 2.0, -v42
	v_fma_f16 v16, v33, 2.0, -v12
	v_fma_f16 v54, v35, 2.0, -v49
	v_fma_f16 v17, v28, 2.0, -v13
	v_fma_f16 v55, v37, 2.0, -v50
	v_fma_f16 v4, v32, 2.0, -v18
	v_fma_f16 v51, v36, 2.0, -v45
	v_add_nc_u32_e32 v25, v24, v19
	v_pack_b32_f16 v26, v10, v43
	v_pack_b32_f16 v27, v14, v52
	;; [unrolled: 1-line block ×7, first 2 shown]
	ds_store_2addr_b32 v25, v23, v26 offset1:1
	ds_store_2addr_b32 v25, v28, v27 offset0:2 offset1:3
	ds_store_2addr_b32 v25, v29, v30 offset0:4 offset1:5
	;; [unrolled: 1-line block ×3, first 2 shown]
	v_pack_b32_f16 v26, v6, v47
	v_lshrrev_b32_e32 v56, 16, v5
	v_pack_b32_f16 v27, v8, v41
	v_pack_b32_f16 v28, v7, v48
	;; [unrolled: 1-line block ×6, first 2 shown]
	ds_store_2addr_b32 v25, v5, v26 offset0:8 offset1:9
	ds_store_2addr_b32 v25, v28, v27 offset0:10 offset1:11
	;; [unrolled: 1-line block ×4, first 2 shown]
	global_wb scope:SCOPE_SE
	s_wait_dscnt 0x0
	s_barrier_signal -1
	s_barrier_wait -1
	global_inv scope:SCOPE_SE
                                        ; implicit-def: $vgpr46
	s_and_saveexec_b32 s1, s0
	s_cbranch_execz .LBB0_12
; %bb.11:
	v_mul_i32_i24_e32 v4, 0xffffffc4, v0
	s_delay_alu instid0(VALU_DEP_1)
	v_add3_u32 v16, v24, v4, v19
	ds_load_2addr_b32 v[4:5], v16 offset0:112 offset1:128
	ds_load_2addr_b32 v[6:7], v16 offset0:144 offset1:160
	;; [unrolled: 1-line block ×5, first 2 shown]
	v_add_nc_u32_e32 v18, 0x200, v16
	ds_load_2addr_b32 v[14:15], v16 offset0:48 offset1:64
	ds_load_2addr_b32 v[16:17], v16 offset0:80 offset1:96
	ds_load_2addr_b32 v[18:19], v18 offset0:112 offset1:128
	ds_load_b32 v23, v20
	s_wait_dscnt 0x8
	v_lshrrev_b32_e32 v51, 16, v4
	v_lshrrev_b32_e32 v56, 16, v5
	s_wait_dscnt 0x7
	v_lshrrev_b32_e32 v47, 16, v6
	v_lshrrev_b32_e32 v48, 16, v7
	;; [unrolled: 3-line block ×6, first 2 shown]
	s_wait_dscnt 0x2
	v_lshrrev_b32_e32 v54, 16, v16
	s_wait_dscnt 0x1
	v_lshrrev_b32_e32 v45, 16, v18
	v_lshrrev_b32_e32 v46, 16, v19
	;; [unrolled: 1-line block ×3, first 2 shown]
.LBB0_12:
	s_wait_alu 0xfffe
	s_or_b32 exec_lo, exec_lo, s1
	global_wb scope:SCOPE_SE
	s_wait_dscnt 0x0
	s_barrier_signal -1
	s_barrier_wait -1
	global_inv scope:SCOPE_SE
	s_and_saveexec_b32 s1, s0
	s_cbranch_execz .LBB0_14
; %bb.13:
	v_lshlrev_b32_e32 v24, 6, v0
	v_lshrrev_b32_e32 v27, 16, v23
	s_delay_alu instid0(VALU_DEP_2)
	v_and_b32_e32 v24, 0x3c0, v24
	s_clause 0x3
	global_load_b128 v[57:60], v24, s[4:5]
	global_load_b128 v[61:64], v24, s[4:5] offset:16
	global_load_b128 v[65:68], v24, s[4:5] offset:32
	;; [unrolled: 1-line block ×3, first 2 shown]
	s_wait_loadcnt 0x3
	v_lshrrev_b32_e32 v25, 16, v57
	v_lshrrev_b32_e32 v26, 16, v58
	;; [unrolled: 1-line block ×3, first 2 shown]
	s_wait_loadcnt 0x0
	v_lshrrev_b32_e32 v32, 16, v72
	v_lshrrev_b32_e32 v30, 16, v61
	;; [unrolled: 1-line block ×6, first 2 shown]
	v_mul_f16_e32 v24, v19, v32
	v_mul_f16_e32 v31, v10, v25
	v_lshrrev_b32_e32 v29, 16, v60
	v_lshrrev_b32_e32 v40, 16, v66
	v_lshrrev_b32_e32 v37, 16, v68
	v_lshrrev_b32_e32 v35, 16, v70
	v_mul_f16_e32 v75, v43, v25
	v_mul_f16_e32 v76, v46, v32
	;; [unrolled: 1-line block ×13, first 2 shown]
	v_fmac_f16_e32 v24, v46, v72
	v_fmac_f16_e32 v31, v43, v57
	v_lshrrev_b32_e32 v38, 16, v63
	v_lshrrev_b32_e32 v73, 16, v64
	;; [unrolled: 1-line block ×3, first 2 shown]
	v_mul_f16_e32 v77, v44, v26
	v_mul_f16_e32 v26, v13, v35
	;; [unrolled: 1-line block ×10, first 2 shown]
	v_fma_f16 v46, v10, v57, -v75
	v_fma_f16 v10, v19, v72, -v76
	v_fmac_f16_e32 v25, v45, v71
	v_fmac_f16_e32 v32, v44, v58
	;; [unrolled: 1-line block ×4, first 2 shown]
	v_fma_f16 v41, v17, v62, -v85
	v_add_f16_e32 v17, v31, v24
	v_sub_f16_e32 v49, v31, v24
	v_mul_f16_e32 v39, v4, v38
	v_mul_f16_e32 v87, v51, v38
	;; [unrolled: 1-line block ×7, first 2 shown]
	v_fma_f16 v45, v11, v58, -v77
	v_fma_f16 v11, v18, v71, -v78
	v_fmac_f16_e32 v26, v50, v70
	v_fmac_f16_e32 v34, v52, v59
	v_fma_f16 v44, v14, v59, -v79
	v_fma_f16 v43, v15, v60, -v81
	v_fmac_f16_e32 v33, v48, v66
	v_sub_f16_e32 v52, v46, v10
	v_add_f16_e32 v15, v32, v25
	v_add_f16_e32 v14, v46, v10
	v_sub_f16_e32 v48, v32, v25
	v_mul_f16_e32 v76, 0xb964, v49
	v_mul_f16_e32 v102, 0x3722, v17
	;; [unrolled: 1-line block ×5, first 2 shown]
	v_mul_f16_e64 v143, 0xb461, v17
	v_mul_f16_e32 v124, 0xbbb2, v49
	v_fma_f16 v13, v13, v70, -v80
	v_fmac_f16_e32 v35, v53, v60
	v_fmac_f16_e32 v29, v42, v68
	v_fma_f16 v42, v16, v61, -v83
	v_fmac_f16_e32 v39, v51, v63
	v_fma_f16 v19, v4, v63, -v87
	v_fma_f16 v4, v7, v66, -v88
	v_fmac_f16_e32 v38, v47, v65
	v_fma_f16 v18, v5, v64, -v73
	v_fma_f16 v16, v6, v65, -v74
	v_sub_f16_e32 v51, v45, v11
	v_add_f16_e32 v5, v34, v26
	v_add_f16_e32 v7, v45, v11
	v_sub_f16_e32 v47, v34, v26
	v_mul_f16_e32 v74, 0xbbf7, v48
	v_mul_f16_e32 v98, 0xb8d2, v15
	;; [unrolled: 1-line block ×5, first 2 shown]
	v_mul_f16_e64 v138, 0xbacd, v15
	v_mul_f16_e32 v122, 0x3836, v48
	v_mul_f16_e64 v178, 0xbacd, v17
	v_mul_f16_e64 v169, 0xb836, v49
	v_fma_f16 v132, 0x39e9, v14, v76
	v_fma_f16 v135, 0x3b29, v52, v102
	;; [unrolled: 1-line block ×7, first 2 shown]
	v_fma_f16 v12, v12, v69, -v82
	v_fmac_f16_e32 v36, v54, v61
	v_fma_f16 v9, v9, v68, -v84
	v_sub_f16_e32 v50, v44, v13
	v_add_f16_e32 v6, v44, v13
	v_add_f16_e32 v54, v35, v28
	v_sub_f16_e32 v59, v35, v28
	v_mul_f16_e32 v84, 0x39e9, v17
	v_mul_f16_e32 v73, 0xba62, v47
	;; [unrolled: 1-line block ×3, first 2 shown]
	v_mul_f16_e64 v163, 0xb8d2, v17
	v_mul_f16_e64 v151, 0xba62, v49
	;; [unrolled: 1-line block ×4, first 2 shown]
	v_mul_f16_e32 v95, 0x31e1, v47
	v_mul_f16_e32 v113, 0xb461, v5
	;; [unrolled: 1-line block ×3, first 2 shown]
	v_mul_f16_e64 v131, 0x39e9, v5
	v_mul_f16_e32 v126, 0x3964, v47
	v_fma_f16 v133, 0x2de8, v7, v74
	v_fma_f16 v137, 0x3a62, v51, v98
	;; [unrolled: 1-line block ×9, first 2 shown]
	v_add_f16_e64 v132, v23, v132
	v_add_f16_e64 v135, v27, v135
	;; [unrolled: 1-line block ×7, first 2 shown]
	v_fmac_f16_e32 v37, v55, v62
	v_fmac_f16_e32 v40, v56, v64
	v_sub_f16_e32 v66, v43, v12
	v_add_f16_e32 v53, v43, v12
	v_add_f16_e32 v56, v36, v29
	v_sub_f16_e32 v62, v36, v29
	v_mul_f16_e32 v82, 0x2de8, v15
	v_mul_f16_e64 v161, 0xb461, v15
	v_mul_f16_e64 v149, 0x3bb2, v48
	;; [unrolled: 1-line block ×4, first 2 shown]
	v_mul_f16_e32 v77, 0xb1e1, v59
	v_mul_f16_e32 v100, 0xb461, v54
	;; [unrolled: 1-line block ×5, first 2 shown]
	v_mul_f16_e64 v136, 0x3722, v54
	v_mul_f16_e32 v123, 0xbb29, v59
	v_fma_f16 v128, 0x3964, v52, v84
	v_fma_f16 v184, 0x3a62, v52, v163
	;; [unrolled: 1-line block ×12, first 2 shown]
	v_add_f16_e64 v132, v133, v132
	v_add_f16_e64 v135, v137, v135
	;; [unrolled: 1-line block ×9, first 2 shown]
	v_fma_f16 v8, v8, v67, -v86
	v_sub_f16_e32 v70, v42, v9
	v_add_f16_e32 v55, v42, v9
	v_add_f16_e32 v58, v37, v30
	v_sub_f16_e32 v65, v37, v30
	v_mul_f16_e32 v75, 0xb8d2, v5
	v_mul_f16_e64 v154, 0x3b76, v5
	v_mul_f16_e64 v152, 0xb5c8, v47
	;; [unrolled: 1-line block ×4, first 2 shown]
	v_mul_f16_e32 v78, 0x3836, v62
	v_mul_f16_e32 v103, 0x39e9, v56
	;; [unrolled: 1-line block ×5, first 2 shown]
	v_mul_f16_e64 v142, 0xbbdd, v56
	v_mul_f16_e32 v125, 0xb1e1, v62
	v_fma_f16 v130, 0x3bf7, v51, v82
	v_fma_f16 v185, 0xbbb2, v51, v161
	;; [unrolled: 1-line block ×12, first 2 shown]
	v_add_f16_e64 v128, v27, v128
	v_add_f16_e64 v184, v27, v184
	;; [unrolled: 1-line block ×12, first 2 shown]
	v_sub_f16_e32 v72, v41, v8
	v_add_f16_e32 v57, v41, v8
	v_add_f16_e32 v61, v39, v33
	v_sub_f16_e32 v67, v39, v33
	v_mul_f16_e32 v85, 0xbbdd, v54
	v_mul_f16_e64 v158, 0xbacd, v54
	v_mul_f16_e64 v148, 0xb836, v59
	;; [unrolled: 1-line block ×3, first 2 shown]
	v_mul_f16_e32 v80, 0x3bb2, v65
	v_mul_f16_e32 v99, 0x3b76, v58
	;; [unrolled: 1-line block ×5, first 2 shown]
	v_mul_f16_e64 v134, 0x2de8, v58
	v_mul_f16_e32 v127, 0x3bf7, v65
	v_mul_f16_e64 v180, 0xb5c8, v62
	v_fma_f16 v192, 0x3a62, v50, v75
	v_fma_f16 v200, 0x35c8, v50, v154
	;; [unrolled: 1-line block ×4, first 2 shown]
	v_add_f16_e64 v128, v130, v128
	v_fma_f16 v130, 0xb8d2, v53, v166
	v_fma_f16 v137, 0xbacd, v55, v78
	;; [unrolled: 1-line block ×7, first 2 shown]
	v_add_f16_e64 v184, v185, v184
	v_fma_f16 v185, 0xbbdd, v55, v125
	v_add_f16_e64 v186, v187, v186
	v_add_f16_e64 v188, v202, v188
	;; [unrolled: 1-line block ×10, first 2 shown]
	v_sub_f16_e32 v69, v19, v4
	v_add_f16_e32 v60, v19, v4
	v_add_f16_e32 v64, v40, v38
	v_sub_f16_e32 v68, v40, v38
	v_mul_f16_e32 v88, 0xbacd, v56
	v_mul_f16_e64 v162, 0x2de8, v56
	v_mul_f16_e64 v150, 0x3bf7, v62
	v_mul_f16_e32 v81, 0x3b29, v67
	v_mul_f16_e32 v101, 0x2de8, v61
	;; [unrolled: 1-line block ×5, first 2 shown]
	v_fma_f16 v204, 0x31e1, v66, v85
	v_fma_f16 v212, 0x3836, v66, v158
	;; [unrolled: 1-line block ×4, first 2 shown]
	v_add_f16_e64 v128, v192, v128
	v_fma_f16 v193, 0xb461, v57, v80
	v_fma_f16 v194, 0x3b76, v55, v180
	;; [unrolled: 1-line block ×7, first 2 shown]
	v_add_f16_e64 v184, v200, v184
	v_fma_f16 v200, 0x2de8, v57, v127
	v_add_f16_e64 v186, v201, v186
	v_add_f16_e64 v188, v214, v188
	v_add_f16_e64 v130, v130, v190
	v_add_f16_e64 v132, v137, v132
	v_add_f16_e64 v135, v141, v135
	v_add_f16_e64 v140, v146, v140
	v_add_f16_e64 v145, v159, v145
	v_add_f16_e64 v155, v181, v155
	v_add_f16_e64 v176, v183, v176
	v_add_f16_e64 v182, v185, v182
	v_sub_f16_e32 v71, v18, v16
	v_add_f16_e32 v63, v18, v16
	v_mul_f16_e64 v157, 0x39e9, v58
	v_mul_f16_e64 v153, 0xb964, v65
	v_mul_f16_e32 v117, 0xb8d2, v61
	v_mul_f16_e64 v139, 0x3b76, v61
	v_mul_f16_e32 v79, 0x35c8, v68
	v_mul_f16_e32 v104, 0xbacd, v64
	;; [unrolled: 1-line block ×4, first 2 shown]
	v_mul_f16_e64 v129, 0xba62, v68
	v_fma_f16 v133, 0xb836, v70, v88
	v_fma_f16 v187, 0xbbf7, v70, v162
	;; [unrolled: 1-line block ×3, first 2 shown]
	v_add_f16_e64 v128, v204, v128
	v_fma_f16 v205, 0x3722, v60, v81
	v_fma_f16 v206, 0x3bf7, v69, v101
	;; [unrolled: 1-line block ×5, first 2 shown]
	v_add_f16_e64 v184, v212, v184
	v_add_f16_e64 v186, v213, v186
	;; [unrolled: 1-line block ×11, first 2 shown]
	v_mul_f16_e64 v171, 0xbbdd, v58
	v_mul_f16_e64 v160, 0xbbdd, v61
	;; [unrolled: 1-line block ×3, first 2 shown]
	v_mul_f16_e32 v120, 0x39e9, v64
	v_mul_f16_e64 v144, 0xb8d2, v64
	v_mul_f16_e64 v179, 0xb1e1, v65
	;; [unrolled: 1-line block ×3, first 2 shown]
	v_fma_f16 v201, 0x3964, v72, v157
	v_fma_f16 v202, 0x39e9, v57, v153
	;; [unrolled: 1-line block ×4, first 2 shown]
	v_add_f16_e64 v128, v133, v128
	v_fma_f16 v133, 0x3b76, v63, v79
	v_fma_f16 v137, 0x3836, v71, v104
	;; [unrolled: 1-line block ×5, first 2 shown]
	v_add_f16_e64 v184, v187, v184
	v_add_f16_e64 v186, v189, v186
	;; [unrolled: 1-line block ×7, first 2 shown]
	v_mul_f16_e32 v86, 0xb461, v58
	v_mul_f16_e64 v164, 0x3722, v64
	v_mul_f16_e64 v156, 0x3b29, v68
	v_fma_f16 v203, 0x31e1, v72, v171
	v_fma_f16 v212, 0x31e1, v69, v160
	;; [unrolled: 1-line block ×6, first 2 shown]
	v_add_f16_e64 v182, v201, v184
	v_add_f16_e64 v184, v202, v186
	;; [unrolled: 1-line block ×9, first 2 shown]
	v_fma_f16 v145, 0x31e1, v52, v165
	v_mul_f16_e64 v176, 0x3b76, v15
	v_fma_f16 v76, v14, 0x39e9, -v76
	v_mul_f16_e32 v87, 0x3722, v61
	v_mul_f16_e64 v177, 0x3964, v67
	v_fma_f16 v192, 0xbbb2, v72, v86
	v_fma_f16 v185, 0xbb29, v71, v164
	v_fma_f16 v189, 0x3722, v63, v156
	v_add_f16_e64 v186, v203, v188
	v_add_f16_e64 v182, v212, v182
	;; [unrolled: 1-line block ×7, first 2 shown]
	v_fma_f16 v187, 0xb5c8, v51, v176
	v_mul_f16_e64 v188, 0xbacd, v5
	v_add_f16_e32 v46, v23, v46
	v_add_f16_e32 v31, v27, v31
	v_add_f16_e32 v76, v23, v76
	v_fma_f16 v74, v7, 0x2de8, -v74
	v_mul_f16_e64 v173, 0x39e9, v61
	v_mul_f16_e32 v83, 0x3b76, v64
	v_fma_f16 v204, 0xbb29, v69, v87
	v_add_f16_e64 v128, v192, v128
	v_fma_f16 v159, 0x39e9, v60, v177
	v_add_f16_e64 v145, v185, v182
	v_add_f16_e64 v146, v189, v184
	;; [unrolled: 1-line block ×3, first 2 shown]
	v_fma_f16 v183, 0x3836, v50, v188
	v_mul_f16_e64 v184, 0x39e9, v54
	v_mul_f16_e64 v187, 0xb1e1, v49
	v_add_f16_e32 v45, v46, v45
	v_add_f16_e32 v31, v31, v32
	v_fmac_f16_e64 v165, 0xb1e1, v52
	v_fmac_f16_e64 v178, 0xb836, v52
	;; [unrolled: 1-line block ×4, first 2 shown]
	v_fmac_f16_e32 v119, 0xbbf7, v52
	v_fmac_f16_e32 v102, 0xbb29, v52
	;; [unrolled: 1-line block ×3, first 2 shown]
	v_add_f16_e32 v74, v74, v76
	v_fma_f16 v73, v6, 0xb8d2, -v73
	v_mul_f16_e32 v52, 0xb5c8, v52
	v_fma_f16 v214, 0xb964, v69, v173
	v_fma_f16 v190, 0xb5c8, v71, v83
	v_add_f16_e64 v128, v204, v128
	v_mul_f16_e64 v181, 0xb461, v64
	v_add_f16_e64 v159, v159, v155
	v_add_f16_e64 v155, v183, v182
	v_fma_f16 v182, 0xb964, v66, v184
	v_mul_f16_e64 v183, 0xb8d2, v56
	v_fma_f16 v191, 0xbbdd, v14, v187
	v_mul_f16_e64 v192, 0x35c8, v48
	v_add_f16_e32 v44, v45, v44
	v_add_f16_e32 v31, v31, v34
	v_fmac_f16_e64 v176, 0x35c8, v51
	v_fmac_f16_e64 v175, 0x3b29, v51
	;; [unrolled: 1-line block ×4, first 2 shown]
	v_fmac_f16_e32 v116, 0xb1e1, v51
	v_fmac_f16_e32 v98, 0xba62, v51
	;; [unrolled: 1-line block ×3, first 2 shown]
	v_add_f16_e32 v73, v73, v74
	v_fma_f16 v74, v53, 0xbbdd, -v77
	v_fmamk_f16 v77, v17, 0x3b76, v52
	v_mul_f16_e32 v51, 0xb964, v51
	v_add_f16_e64 v186, v214, v186
	v_add_f16_e64 v128, v190, v128
	v_mul_f16_e64 v190, 0xbbb2, v68
	v_fma_f16 v185, 0x3bb2, v71, v181
	v_add_f16_e64 v182, v182, v155
	v_fma_f16 v193, 0x3a62, v70, v183
	v_mul_f16_e64 v194, 0x3722, v58
	v_add_f16_e64 v191, v23, v191
	v_fma_f16 v195, 0x3b76, v7, v192
	v_mul_f16_e64 v196, 0xb836, v47
	v_add_f16_e32 v43, v44, v43
	v_add_f16_e32 v31, v31, v35
	v_fmac_f16_e64 v188, 0xb836, v50
	v_fmac_f16_e64 v170, 0xbbf7, v50
	;; [unrolled: 1-line block ×4, first 2 shown]
	v_fmac_f16_e32 v113, 0x3bb2, v50
	v_fmac_f16_e32 v91, 0x31e1, v50
	;; [unrolled: 1-line block ×3, first 2 shown]
	v_add_f16_e32 v73, v74, v73
	v_fma_f16 v74, v55, 0xbacd, -v78
	v_add_f16_e32 v77, v27, v77
	v_fmamk_f16 v78, v15, 0x39e9, v51
	v_mul_f16_e32 v50, 0xbb29, v50
	v_fma_f16 v189, 0xb461, v63, v190
	v_add_f16_e64 v155, v185, v186
	v_add_f16_e64 v182, v193, v182
	v_fma_f16 v185, 0xbb29, v72, v194
	v_add_f16_e64 v186, v195, v191
	v_fma_f16 v191, 0xbacd, v6, v196
	v_mul_f16_e64 v193, 0x3964, v59
	v_add_f16_e32 v42, v43, v42
	v_add_f16_e32 v31, v31, v36
	v_fmac_f16_e64 v184, 0x3964, v66
	v_fmac_f16_e64 v172, 0x3a62, v66
	;; [unrolled: 1-line block ×4, first 2 shown]
	v_fmac_f16_e32 v115, 0x35c8, v66
	v_fmac_f16_e32 v100, 0x3bb2, v66
	;; [unrolled: 1-line block ×3, first 2 shown]
	v_add_f16_e32 v73, v74, v73
	v_fma_f16 v74, v57, 0xb461, -v80
	v_add_f16_e32 v77, v78, v77
	v_fmamk_f16 v78, v5, 0x3722, v50
	v_mul_f16_e32 v66, 0xbbf7, v66
	v_add_f16_e64 v159, v189, v159
	v_mul_f16_e64 v189, 0xb461, v61
	v_add_f16_e64 v182, v185, v182
	v_add_f16_e64 v185, v191, v186
	v_fma_f16 v186, 0x39e9, v53, v193
	v_mul_f16_e64 v191, 0xba62, v62
	v_add_f16_e32 v41, v42, v41
	v_add_f16_e32 v31, v31, v37
	v_fmac_f16_e64 v183, 0xba62, v70
	v_fmac_f16_e64 v174, 0xb5c8, v70
	;; [unrolled: 1-line block ×4, first 2 shown]
	v_fmac_f16_e32 v118, 0xbb29, v70
	v_fmac_f16_e32 v103, 0x3964, v70
	;; [unrolled: 1-line block ×3, first 2 shown]
	v_add_f16_e32 v73, v74, v73
	v_fma_f16 v74, v60, 0x3722, -v81
	v_add_f16_e32 v77, v78, v77
	v_fmamk_f16 v78, v54, 0x2de8, v66
	v_mul_f16_e32 v70, 0xbbb2, v70
	v_mul_f16_e32 v49, 0xb5c8, v49
	v_fma_f16 v195, 0x3bb2, v69, v189
	v_mul_f16_e64 v197, 0x2de8, v64
	v_add_f16_e64 v185, v186, v185
	v_fma_f16 v186, 0xb8d2, v55, v191
	v_mul_f16_e64 v198, 0x3b29, v65
	v_add_f16_e32 v19, v41, v19
	v_add_f16_e32 v31, v31, v39
	v_fmac_f16_e64 v194, 0x3b29, v72
	v_fmac_f16_e64 v171, 0xb1e1, v72
	;; [unrolled: 1-line block ×4, first 2 shown]
	v_fmac_f16_e32 v114, 0xb836, v72
	v_fmac_f16_e32 v99, 0xb5c8, v72
	v_fmac_f16_e32 v86, 0x3bb2, v72
	v_add_f16_e32 v73, v74, v73
	v_fma_f16 v74, v63, 0x3b76, -v79
	v_add_f16_e32 v77, v78, v77
	v_fmamk_f16 v78, v56, 0xb461, v70
	v_mul_f16_e32 v72, 0xba62, v72
	v_fma_f16 v79, v14, 0x3b76, -v49
	v_mul_f16_e32 v48, 0xb964, v48
	v_add_f16_e64 v165, v27, v165
	v_add_f16_e64 v182, v195, v182
	v_fma_f16 v195, 0xbbf7, v71, v197
	v_add_f16_e64 v185, v186, v185
	v_fma_f16 v186, 0x3722, v57, v198
	v_add_f16_e32 v18, v19, v18
	v_add_f16_e32 v19, v31, v40
	;; [unrolled: 1-line block ×4, first 2 shown]
	v_fmamk_f16 v77, v58, 0xb8d2, v72
	v_add_f16_e32 v78, v23, v79
	v_fma_f16 v79, v7, 0x39e9, -v48
	v_mul_f16_e32 v47, 0xbb29, v47
	v_fma_f16 v108, v14, 0x2de8, -v108
	v_fma_f16 v92, v14, 0x3722, -v92
	v_fma_f16 v151, v14, 0xb8d2, -v151
	v_fma_f16 v124, v14, 0xb461, -v124
	v_fma_f16 v17, v17, 0x3b76, -v52
	v_add_f16_e64 v176, v176, v165
	v_add_f16_e64 v165, v195, v182
	v_mul_f16_e64 v182, 0xbbb2, v67
	v_add_f16_e64 v185, v186, v185
	v_fma_f16 v186, v14, 0xbbdd, -v187
	v_fma_f16 v169, v14, 0xbacd, -v169
	v_add_f16_e32 v16, v18, v16
	v_add_f16_e32 v18, v19, v38
	;; [unrolled: 1-line block ×5, first 2 shown]
	v_fma_f16 v78, v6, 0x3722, -v47
	v_mul_f16_e32 v32, 0xbbf7, v59
	v_add_f16_e32 v119, v27, v119
	v_add_f16_e32 v108, v23, v108
	v_fma_f16 v105, v7, 0xbbdd, -v105
	v_add_f16_e32 v102, v27, v102
	v_add_f16_e32 v92, v23, v92
	v_fma_f16 v89, v7, 0xb8d2, -v89
	v_add_f16_e64 v163, v27, v163
	v_add_f16_e64 v151, v23, v151
	v_fma_f16 v149, v7, 0xb461, -v149
	v_add_f16_e64 v143, v27, v143
	v_add_f16_e32 v124, v23, v124
	v_fma_f16 v122, v7, 0xbacd, -v122
	v_add_f16_e32 v17, v27, v17
	v_fma_f16 v15, v15, 0x39e9, -v51
	v_fmac_f16_e32 v49, 0x3b76, v14
	v_add_f16_e64 v176, v188, v176
	v_fma_f16 v187, 0xb461, v60, v182
	v_mul_f16_e64 v188, 0x3bf7, v68
	v_add_f16_e64 v186, v23, v186
	v_fma_f16 v192, v7, 0x3b76, -v192
	v_add_f16_e64 v178, v27, v178
	v_add_f16_e64 v169, v23, v169
	v_fma_f16 v167, v7, 0x3722, -v167
	v_add_f16_e32 v4, v16, v4
	v_add_f16_e32 v14, v18, v33
	;; [unrolled: 1-line block ×4, first 2 shown]
	v_fma_f16 v34, v53, 0x2de8, -v32
	v_mul_f16_e32 v45, 0xbbb2, v62
	v_add_f16_e32 v116, v116, v119
	v_add_f16_e32 v105, v105, v108
	v_fma_f16 v108, v6, 0xb461, -v110
	v_add_f16_e32 v98, v98, v102
	v_add_f16_e32 v89, v89, v92
	v_fma_f16 v92, v6, 0xbbdd, -v95
	v_add_f16_e64 v163, v161, v163
	v_add_f16_e64 v149, v149, v151
	v_fma_f16 v151, v6, 0x3b76, -v152
	v_add_f16_e64 v138, v138, v143
	v_add_f16_e32 v122, v122, v124
	v_fma_f16 v124, v6, 0x39e9, -v126
	v_add_f16_e32 v15, v15, v17
	v_fma_f16 v5, v5, 0x3722, -v50
	v_add_f16_e32 v16, v23, v49
	v_fmac_f16_e32 v48, 0x39e9, v7
	v_add_f16_e64 v176, v184, v176
	v_add_f16_e64 v184, v187, v185
	v_fma_f16 v185, 0x2de8, v63, v188
	v_add_f16_e64 v186, v192, v186
	v_fma_f16 v187, v6, 0xbacd, -v196
	v_add_f16_e64 v178, v175, v178
	v_add_f16_e64 v169, v167, v169
	v_fma_f16 v168, v6, 0x2de8, -v168
	v_add_f16_e32 v4, v4, v8
	v_add_f16_e32 v7, v14, v30
	;; [unrolled: 1-line block ×4, first 2 shown]
	v_fma_f16 v35, v55, 0xb461, -v45
	v_mul_f16_e32 v36, 0xba62, v65
	v_add_f16_e32 v113, v113, v116
	v_add_f16_e32 v105, v108, v105
	v_fma_f16 v107, v53, 0x3b76, -v107
	v_add_f16_e32 v91, v91, v98
	v_add_f16_e32 v89, v92, v89
	v_fma_f16 v92, v53, 0xb461, -v93
	v_add_f16_e64 v154, v154, v163
	v_add_f16_e64 v149, v151, v149
	v_fma_f16 v148, v53, 0xbacd, -v148
	v_add_f16_e64 v131, v131, v138
	v_add_f16_e32 v122, v124, v122
	v_fma_f16 v123, v53, 0x3722, -v123
	v_add_f16_e32 v5, v5, v15
	v_fma_f16 v8, v54, 0x2de8, -v66
	v_add_f16_e32 v14, v48, v16
	v_fmac_f16_e32 v47, 0x3722, v6
	v_add_f16_e64 v183, v183, v176
	v_add_f16_e64 v176, v185, v184
	;; [unrolled: 1-line block ×3, first 2 shown]
	v_fma_f16 v185, v53, 0x39e9, -v193
	v_add_f16_e64 v170, v170, v178
	v_add_f16_e64 v168, v168, v169
	v_fma_f16 v166, v53, 0xb8d2, -v166
	v_add_f16_e32 v4, v4, v9
	v_add_f16_e32 v6, v7, v29
	;; [unrolled: 1-line block ×4, first 2 shown]
	v_fma_f16 v37, v57, 0xb8d2, -v36
	v_mul_f16_e32 v42, 0xb836, v67
	v_add_f16_e32 v113, v115, v113
	v_add_f16_e32 v105, v107, v105
	v_fma_f16 v107, v55, 0x3722, -v109
	v_add_f16_e32 v91, v100, v91
	v_add_f16_e32 v89, v92, v89
	v_fma_f16 v92, v55, 0x39e9, -v94
	v_add_f16_e64 v154, v158, v154
	v_add_f16_e64 v148, v148, v149
	v_fma_f16 v149, v55, 0x2de8, -v150
	v_add_f16_e64 v131, v136, v131
	v_add_f16_e32 v122, v123, v122
	v_fma_f16 v123, v55, 0xbbdd, -v125
	v_add_f16_e32 v5, v8, v5
	v_fma_f16 v7, v56, 0xb461, -v70
	v_add_f16_e32 v8, v47, v14
	v_fmac_f16_e32 v32, 0x2de8, v53
	v_add_f16_e64 v184, v185, v184
	v_fma_f16 v185, v55, 0xb8d2, -v191
	v_add_f16_e64 v170, v172, v170
	v_add_f16_e64 v166, v166, v168
	v_fma_f16 v168, v55, 0x3b76, -v180
	v_add_f16_e32 v4, v4, v12
	v_add_f16_e32 v6, v6, v28
	;; [unrolled: 1-line block ×3, first 2 shown]
	v_mul_f16_e32 v46, 0xb836, v69
	v_add_f16_e32 v34, v37, v34
	v_fma_f16 v37, v60, 0xbacd, -v42
	v_add_f16_e32 v110, v118, v113
	v_add_f16_e32 v102, v107, v105
	v_fma_f16 v105, v57, 0xbacd, -v111
	v_add_f16_e32 v91, v103, v91
	v_add_f16_e32 v84, v92, v89
	v_fma_f16 v89, v57, 0x3b76, -v97
	v_add_f16_e64 v152, v162, v154
	v_add_f16_e64 v143, v149, v148
	v_fma_f16 v148, v57, 0x39e9, -v153
	v_add_f16_e64 v126, v142, v131
	v_add_f16_e32 v119, v123, v122
	v_fma_f16 v122, v57, 0x2de8, -v127
	v_add_f16_e32 v5, v7, v5
	v_fma_f16 v7, v58, 0xb8d2, -v72
	v_add_f16_e32 v8, v32, v8
	v_fmac_f16_e32 v45, 0xb461, v55
	v_add_f16_e64 v184, v185, v184
	v_fma_f16 v185, v57, 0x3722, -v198
	v_add_f16_e64 v170, v174, v170
	v_add_f16_e64 v166, v168, v166
	v_fma_f16 v168, v57, 0xbbdd, -v179
	v_add_f16_e32 v4, v4, v13
	v_add_f16_e32 v6, v6, v26
	;; [unrolled: 1-line block ×3, first 2 shown]
	v_fmac_f16_e32 v87, 0x3b29, v69
	v_fmamk_f16 v62, v61, 0xbacd, v46
	v_mul_f16_e32 v35, 0xb1e1, v71
	v_add_f16_e32 v31, v37, v34
	v_mul_f16_e32 v34, 0xb1e1, v68
	v_add_f16_e32 v108, v114, v110
	v_fmac_f16_e32 v117, 0x3a62, v69
	v_add_f16_e32 v98, v105, v102
	v_fma_f16 v102, v60, 0xb8d2, -v106
	v_add_f16_e32 v91, v99, v91
	v_fmac_f16_e32 v101, 0xbbf7, v69
	v_add_f16_e32 v82, v89, v84
	v_fma_f16 v84, v60, 0x2de8, -v90
	v_add_f16_e64 v151, v157, v152
	v_fmac_f16_e64 v160, 0xb1e1, v69
	v_add_f16_e64 v138, v148, v143
	v_fma_f16 v143, v60, 0xbbdd, -v147
	v_add_f16_e64 v124, v134, v126
	v_fmac_f16_e64 v139, 0xb5c8, v69
	v_add_f16_e32 v116, v122, v119
	v_fma_f16 v119, v60, 0x3b76, -v121
	v_add_f16_e32 v5, v7, v5
	v_fma_f16 v7, v61, 0xbacd, -v46
	v_add_f16_e32 v8, v45, v8
	v_fmac_f16_e32 v36, 0xb8d2, v57
	v_add_f16_e64 v183, v194, v183
	v_fmac_f16_e64 v189, 0xbbb2, v69
	v_add_f16_e64 v178, v185, v184
	v_fma_f16 v182, v60, 0xb461, -v182
	v_add_f16_e64 v169, v171, v170
	v_fmac_f16_e64 v173, 0x3964, v69
	v_add_f16_e64 v163, v168, v166
	v_fma_f16 v166, v60, 0x39e9, -v177
	v_add_f16_e32 v4, v4, v11
	v_add_f16_e32 v6, v6, v25
	;; [unrolled: 1-line block ×3, first 2 shown]
	v_fmac_f16_e32 v83, 0x35c8, v71
	v_add_f16_e32 v44, v62, v74
	v_fmamk_f16 v43, v64, 0xbbdd, v35
	v_fma_f16 v19, v63, 0xbbdd, -v34
	v_add_f16_e32 v108, v117, v108
	v_fmac_f16_e32 v120, 0x3964, v71
	v_add_f16_e32 v98, v102, v98
	v_fma_f16 v100, v63, 0x39e9, -v112
	v_add_f16_e32 v91, v101, v91
	v_fmac_f16_e32 v104, 0xb836, v71
	v_add_f16_e32 v82, v84, v82
	v_fma_f16 v84, v63, 0xbacd, -v96
	v_add_f16_e64 v150, v160, v151
	v_fmac_f16_e64 v164, 0x3b29, v71
	v_add_f16_e64 v136, v143, v138
	v_fma_f16 v138, v63, 0x3722, -v156
	v_add_f16_e64 v124, v139, v124
	v_fmac_f16_e64 v144, 0xba62, v71
	v_add_f16_e32 v115, v119, v116
	v_fma_f16 v116, v63, 0xb8d2, -v129
	v_add_f16_e32 v5, v7, v5
	v_fma_f16 v7, v64, 0xbbdd, -v35
	v_add_f16_e32 v8, v36, v8
	v_fmac_f16_e32 v42, 0xbacd, v60
	v_add_f16_e64 v183, v189, v183
	v_fmac_f16_e64 v197, 0x3bf7, v71
	v_add_f16_e64 v172, v182, v178
	v_fma_f16 v178, v63, 0x2de8, -v188
	v_add_f16_e64 v169, v173, v169
	v_fmac_f16_e64 v181, 0xbbb2, v71
	v_add_f16_e64 v158, v166, v163
	v_fma_f16 v163, v63, 0xb461, -v190
	v_add_f16_e32 v4, v4, v10
	v_add_f16_e32 v6, v6, v24
	;; [unrolled: 1-line block ×9, first 2 shown]
	v_add_f16_e64 v149, v164, v150
	v_add_f16_e64 v131, v138, v136
	;; [unrolled: 1-line block ×3, first 2 shown]
	v_add_f16_e32 v113, v116, v115
	v_add_f16_e32 v5, v7, v5
	;; [unrolled: 1-line block ×3, first 2 shown]
	v_fmac_f16_e32 v34, 0xbbdd, v63
	v_add_f16_e64 v175, v197, v183
	v_add_f16_e64 v167, v178, v172
	;; [unrolled: 1-line block ×4, first 2 shown]
	v_pack_b32_f16 v4, v4, v6
	v_pack_b32_f16 v6, v9, v39
	;; [unrolled: 1-line block ×7, first 2 shown]
	v_add_f16_e32 v7, v34, v7
	ds_store_b32 v20, v4
	ds_store_2addr_b32 v1, v6, v8 offset0:16 offset1:32
	ds_store_2addr_b32 v1, v9, v10 offset0:48 offset1:64
	;; [unrolled: 1-line block ×3, first 2 shown]
	v_pack_b32_f16 v4, v154, v161
	v_pack_b32_f16 v6, v167, v175
	;; [unrolled: 1-line block ×10, first 2 shown]
	v_add_nc_u32_e32 v7, 0x200, v1
	ds_store_2addr_b32 v1, v4, v6 offset0:112 offset1:128
	ds_store_2addr_b32 v1, v8, v9 offset0:144 offset1:160
	;; [unrolled: 1-line block ×5, first 2 shown]
.LBB0_14:
	s_wait_alu 0xfffe
	s_or_b32 exec_lo, exec_lo, s1
	global_wb scope:SCOPE_SE
	s_wait_dscnt 0x0
	s_barrier_signal -1
	s_barrier_wait -1
	global_inv scope:SCOPE_SE
	ds_load_b32 v9, v20
	v_sub_nc_u32_e32 v6, v21, v22
	s_mov_b32 s1, exec_lo
                                        ; implicit-def: $vgpr8
                                        ; implicit-def: $vgpr7
                                        ; implicit-def: $vgpr4_vgpr5
	s_wait_dscnt 0x0
	v_lshrrev_b32_e32 v10, 16, v9
	v_cmpx_ne_u32_e32 0, v0
	s_wait_alu 0xfffe
	s_xor_b32 s1, exec_lo, s1
	s_cbranch_execz .LBB0_16
; %bb.15:
	v_mov_b32_e32 v1, 0
	s_delay_alu instid0(VALU_DEP_1) | instskip(NEXT) | instid1(VALU_DEP_1)
	v_lshlrev_b64_e32 v[4:5], 2, v[0:1]
	v_add_co_u32 v4, s0, s4, v4
	s_wait_alu 0xf1ff
	s_delay_alu instid0(VALU_DEP_2)
	v_add_co_ci_u32_e64 v5, s0, s5, v5, s0
	global_load_b32 v4, v[4:5], off offset:1024
	ds_load_b32 v5, v6 offset:1088
	s_wait_dscnt 0x0
	v_lshrrev_b32_e32 v7, 16, v5
	v_sub_f16_e32 v8, v9, v5
	v_add_f16_e32 v5, v5, v9
	s_delay_alu instid0(VALU_DEP_3) | instskip(SKIP_1) | instid1(VALU_DEP_4)
	v_add_f16_e32 v11, v7, v10
	v_sub_f16_e32 v7, v10, v7
	v_mul_f16_e32 v8, 0.5, v8
	s_delay_alu instid0(VALU_DEP_3) | instskip(NEXT) | instid1(VALU_DEP_3)
	v_mul_f16_e32 v11, 0.5, v11
	v_mul_f16_e32 v7, 0.5, v7
	s_wait_loadcnt 0x0
	v_lshrrev_b32_e32 v10, 16, v4
	s_delay_alu instid0(VALU_DEP_1) | instskip(NEXT) | instid1(VALU_DEP_3)
	v_mul_f16_e32 v9, v10, v8
	v_fma_f16 v12, v11, v10, v7
	v_fma_f16 v10, v11, v10, -v7
	s_delay_alu instid0(VALU_DEP_3) | instskip(SKIP_1) | instid1(VALU_DEP_4)
	v_fma_f16 v7, 0.5, v5, v9
	v_fma_f16 v5, v5, 0.5, -v9
	v_fma_f16 v9, -v4, v8, v12
	s_delay_alu instid0(VALU_DEP_4)
	v_fma_f16 v10, -v4, v8, v10
	ds_store_b16 v20, v9 offset:2
	ds_store_b16 v6, v10 offset:1090
	v_fmac_f16_e32 v7, v4, v11
	v_fma_f16 v8, -v4, v11, v5
	v_dual_mov_b32 v5, v1 :: v_dual_mov_b32 v4, v0
                                        ; implicit-def: $vgpr10
                                        ; implicit-def: $vgpr9
.LBB0_16:
	s_wait_alu 0xfffe
	s_and_not1_saveexec_b32 s0, s1
	s_cbranch_execz .LBB0_18
; %bb.17:
	v_dual_mov_b32 v1, 0 :: v_dual_mov_b32 v4, 0
	v_add_f16_e32 v7, v10, v9
	v_mov_b32_e32 v5, 0
	v_sub_f16_e32 v8, v9, v10
	ds_store_b16 v20, v1 offset:2
	ds_store_b16 v6, v1 offset:1090
	ds_load_u16 v1, v21 offset:546
	s_wait_dscnt 0x0
	v_xor_b32_e32 v1, 0x8000, v1
	ds_store_b16 v21, v1 offset:546
.LBB0_18:
	s_wait_alu 0xfffe
	s_or_b32 exec_lo, exec_lo, s0
	v_lshlrev_b64_e32 v[4:5], 2, v[4:5]
	s_add_nc_u64 s[0:1], s[4:5], 0x400
	v_xor_b32_e32 v15, 0xff, v0
	s_wait_alu 0xfffe
	s_delay_alu instid0(VALU_DEP_2)
	v_add_co_u32 v9, s0, s0, v4
	s_wait_alu 0xf1ff
	v_add_co_ci_u32_e64 v10, s0, s1, v5, s0
	v_lshl_add_u32 v15, v15, 2, v21
	s_clause 0x4
	global_load_b32 v1, v[9:10], off offset:68
	global_load_b32 v11, v[9:10], off offset:136
	;; [unrolled: 1-line block ×5, first 2 shown]
	ds_store_b16 v20, v7
	ds_store_b16 v6, v8 offset:1088
	ds_load_2addr_b32 v[7:8], v20 offset0:17 offset1:34
	ds_load_b32 v16, v15
	s_clause 0x1
	global_load_b32 v17, v[9:10], off offset:408
	global_load_b32 v9, v[9:10], off offset:476
	s_wait_dscnt 0x0
	v_pk_add_f16 v18, v7, v16 neg_lo:[0,1] neg_hi:[0,1]
	v_pk_add_f16 v7, v7, v16
	s_delay_alu instid0(VALU_DEP_1) | instskip(SKIP_1) | instid1(VALU_DEP_2)
	v_bfi_b32 v16, 0xffff, v18, v7
	v_bfi_b32 v7, 0xffff, v7, v18
	v_pk_mul_f16 v16, v16, 0.5 op_sel_hi:[1,0]
	s_delay_alu instid0(VALU_DEP_2) | instskip(SKIP_1) | instid1(VALU_DEP_2)
	v_pk_mul_f16 v18, v7, 0.5 op_sel_hi:[1,0]
	s_wait_loadcnt 0x6
	v_pk_mul_f16 v10, v1, v16 op_sel:[1,0]
	v_pk_mul_f16 v1, v1, v16 op_sel_hi:[0,1]
	s_delay_alu instid0(VALU_DEP_2) | instskip(SKIP_2) | instid1(VALU_DEP_3)
	v_pk_fma_f16 v7, v7, 0.5, v10 op_sel_hi:[1,0,1]
	v_bfi_b32 v16, 0xffff, v18, v10
	v_bfi_b32 v10, 0xffff, v10, v18
	v_pk_add_f16 v18, v7, v1 op_sel:[0,1] op_sel_hi:[1,0]
	v_pk_add_f16 v7, v7, v1 op_sel:[0,1] op_sel_hi:[1,0] neg_lo:[0,1] neg_hi:[0,1]
	s_delay_alu instid0(VALU_DEP_3) | instskip(NEXT) | instid1(VALU_DEP_2)
	v_pk_add_f16 v10, v16, v10 neg_lo:[0,1] neg_hi:[0,1]
	v_bfi_b32 v7, 0xffff, v18, v7
	s_delay_alu instid0(VALU_DEP_2)
	v_pk_add_f16 v1, v10, v1 op_sel:[0,1] op_sel_hi:[1,0] neg_lo:[0,1] neg_hi:[0,1]
	ds_store_b32 v20, v7 offset:68
	ds_store_b32 v15, v1
	ds_load_b32 v1, v6 offset:952
	s_wait_dscnt 0x0
	v_pk_add_f16 v7, v8, v1 neg_lo:[0,1] neg_hi:[0,1]
	v_pk_add_f16 v1, v8, v1
	s_delay_alu instid0(VALU_DEP_1) | instskip(SKIP_1) | instid1(VALU_DEP_2)
	v_bfi_b32 v8, 0xffff, v7, v1
	v_bfi_b32 v1, 0xffff, v1, v7
	v_pk_mul_f16 v7, v8, 0.5 op_sel_hi:[1,0]
	s_delay_alu instid0(VALU_DEP_2) | instskip(SKIP_1) | instid1(VALU_DEP_2)
	v_pk_mul_f16 v8, v1, 0.5 op_sel_hi:[1,0]
	s_wait_loadcnt 0x5
	v_pk_mul_f16 v10, v11, v7 op_sel:[1,0]
	v_pk_mul_f16 v7, v11, v7 op_sel_hi:[0,1]
	s_delay_alu instid0(VALU_DEP_3) | instskip(NEXT) | instid1(VALU_DEP_3)
	v_lshrrev_b32_e32 v11, 16, v8
	v_lshrrev_b32_e32 v15, 16, v10
	v_pk_fma_f16 v1, v1, 0.5, v10 op_sel_hi:[1,0,1]
	v_sub_f16_e32 v8, v8, v10
	s_delay_alu instid0(VALU_DEP_3) | instskip(NEXT) | instid1(VALU_DEP_3)
	v_sub_f16_e32 v11, v15, v11
	v_pk_add_f16 v10, v1, v7 op_sel:[0,1] op_sel_hi:[1,0]
	v_pk_add_f16 v1, v1, v7 op_sel:[0,1] op_sel_hi:[1,0] neg_lo:[0,1] neg_hi:[0,1]
	v_lshrrev_b32_e32 v15, 16, v7
	s_delay_alu instid0(VALU_DEP_4) | instskip(NEXT) | instid1(VALU_DEP_3)
	v_sub_f16_e32 v7, v11, v7
	v_bfi_b32 v1, 0xffff, v10, v1
	s_delay_alu instid0(VALU_DEP_3)
	v_sub_f16_e32 v8, v8, v15
	ds_store_b16 v6, v7 offset:954
	ds_store_b32 v20, v1 offset:136
	ds_store_b16 v6, v8 offset:952
	ds_load_b32 v1, v20 offset:204
	ds_load_b32 v7, v6 offset:884
	s_wait_dscnt 0x0
	v_pk_add_f16 v8, v1, v7 neg_lo:[0,1] neg_hi:[0,1]
	v_pk_add_f16 v1, v1, v7
	s_delay_alu instid0(VALU_DEP_1) | instskip(SKIP_1) | instid1(VALU_DEP_2)
	v_bfi_b32 v7, 0xffff, v8, v1
	v_bfi_b32 v1, 0xffff, v1, v8
	v_pk_mul_f16 v7, v7, 0.5 op_sel_hi:[1,0]
	s_delay_alu instid0(VALU_DEP_2) | instskip(SKIP_1) | instid1(VALU_DEP_2)
	v_pk_mul_f16 v8, v1, 0.5 op_sel_hi:[1,0]
	s_wait_loadcnt 0x4
	v_pk_mul_f16 v10, v12, v7 op_sel:[1,0]
	v_pk_mul_f16 v7, v12, v7 op_sel_hi:[0,1]
	s_delay_alu instid0(VALU_DEP_3) | instskip(NEXT) | instid1(VALU_DEP_3)
	v_lshrrev_b32_e32 v11, 16, v8
	v_lshrrev_b32_e32 v12, 16, v10
	v_pk_fma_f16 v1, v1, 0.5, v10 op_sel_hi:[1,0,1]
	v_sub_f16_e32 v8, v8, v10
	s_delay_alu instid0(VALU_DEP_3) | instskip(NEXT) | instid1(VALU_DEP_3)
	v_sub_f16_e32 v11, v12, v11
	v_pk_add_f16 v10, v1, v7 op_sel:[0,1] op_sel_hi:[1,0]
	v_pk_add_f16 v1, v1, v7 op_sel:[0,1] op_sel_hi:[1,0] neg_lo:[0,1] neg_hi:[0,1]
	v_lshrrev_b32_e32 v12, 16, v7
	s_delay_alu instid0(VALU_DEP_4) | instskip(NEXT) | instid1(VALU_DEP_3)
	v_sub_f16_e32 v7, v11, v7
	v_bfi_b32 v1, 0xffff, v10, v1
	s_delay_alu instid0(VALU_DEP_3)
	v_sub_f16_e32 v8, v8, v12
	ds_store_b16 v6, v7 offset:886
	ds_store_b32 v20, v1 offset:204
	ds_store_b16 v6, v8 offset:884
	ds_load_b32 v1, v20 offset:272
	ds_load_b32 v7, v6 offset:816
	s_wait_dscnt 0x0
	v_pk_add_f16 v8, v1, v7 neg_lo:[0,1] neg_hi:[0,1]
	v_pk_add_f16 v1, v1, v7
	s_delay_alu instid0(VALU_DEP_1) | instskip(SKIP_1) | instid1(VALU_DEP_2)
	v_bfi_b32 v7, 0xffff, v8, v1
	v_bfi_b32 v1, 0xffff, v1, v8
	v_pk_mul_f16 v7, v7, 0.5 op_sel_hi:[1,0]
	s_delay_alu instid0(VALU_DEP_2) | instskip(SKIP_1) | instid1(VALU_DEP_2)
	v_pk_mul_f16 v8, v1, 0.5 op_sel_hi:[1,0]
	s_wait_loadcnt 0x3
	v_pk_mul_f16 v10, v13, v7 op_sel:[1,0]
	s_delay_alu instid0(VALU_DEP_2) | instskip(SKIP_1) | instid1(VALU_DEP_3)
	v_lshrrev_b32_e32 v11, 16, v8
	v_pk_mul_f16 v7, v13, v7 op_sel_hi:[0,1]
	v_lshrrev_b32_e32 v12, 16, v10
	v_pk_fma_f16 v1, v1, 0.5, v10 op_sel_hi:[1,0,1]
	v_sub_f16_e32 v8, v8, v10
	s_delay_alu instid0(VALU_DEP_3) | instskip(NEXT) | instid1(VALU_DEP_3)
	v_sub_f16_e32 v11, v12, v11
	v_pk_add_f16 v10, v1, v7 op_sel:[0,1] op_sel_hi:[1,0]
	v_pk_add_f16 v1, v1, v7 op_sel:[0,1] op_sel_hi:[1,0] neg_lo:[0,1] neg_hi:[0,1]
	v_lshrrev_b32_e32 v12, 16, v7
	s_delay_alu instid0(VALU_DEP_4) | instskip(NEXT) | instid1(VALU_DEP_3)
	v_sub_f16_e32 v7, v11, v7
	v_bfi_b32 v1, 0xffff, v10, v1
	s_delay_alu instid0(VALU_DEP_3)
	v_sub_f16_e32 v8, v8, v12
	ds_store_b16 v6, v7 offset:818
	ds_store_b32 v20, v1 offset:272
	ds_store_b16 v6, v8 offset:816
	ds_load_b32 v1, v20 offset:340
	ds_load_b32 v7, v6 offset:748
	s_wait_dscnt 0x0
	v_pk_add_f16 v8, v1, v7 neg_lo:[0,1] neg_hi:[0,1]
	v_pk_add_f16 v1, v1, v7
	s_delay_alu instid0(VALU_DEP_1) | instskip(SKIP_1) | instid1(VALU_DEP_2)
	v_bfi_b32 v7, 0xffff, v8, v1
	v_bfi_b32 v1, 0xffff, v1, v8
	v_pk_mul_f16 v7, v7, 0.5 op_sel_hi:[1,0]
	s_delay_alu instid0(VALU_DEP_2) | instskip(SKIP_1) | instid1(VALU_DEP_2)
	v_pk_mul_f16 v8, v1, 0.5 op_sel_hi:[1,0]
	s_wait_loadcnt 0x2
	v_pk_mul_f16 v10, v14, v7 op_sel:[1,0]
	s_delay_alu instid0(VALU_DEP_2) | instskip(SKIP_1) | instid1(VALU_DEP_3)
	v_lshrrev_b32_e32 v11, 16, v8
	v_pk_mul_f16 v7, v14, v7 op_sel_hi:[0,1]
	;; [unrolled: 32-line block ×3, first 2 shown]
	v_lshrrev_b32_e32 v12, 16, v10
	v_pk_fma_f16 v1, v1, 0.5, v10 op_sel_hi:[1,0,1]
	v_sub_f16_e32 v8, v8, v10
	s_delay_alu instid0(VALU_DEP_3) | instskip(NEXT) | instid1(VALU_DEP_3)
	v_sub_f16_e32 v11, v12, v11
	v_pk_add_f16 v10, v1, v7 op_sel:[0,1] op_sel_hi:[1,0]
	v_pk_add_f16 v1, v1, v7 op_sel:[0,1] op_sel_hi:[1,0] neg_lo:[0,1] neg_hi:[0,1]
	v_lshrrev_b32_e32 v12, 16, v7
	s_delay_alu instid0(VALU_DEP_4) | instskip(NEXT) | instid1(VALU_DEP_3)
	v_sub_f16_e32 v7, v11, v7
	v_bfi_b32 v1, 0xffff, v10, v1
	s_delay_alu instid0(VALU_DEP_3)
	v_sub_f16_e32 v8, v8, v12
	ds_store_b16 v6, v7 offset:682
	ds_store_b32 v20, v1 offset:408
	ds_store_b16 v6, v8 offset:680
	ds_load_b32 v1, v20 offset:476
	ds_load_b32 v7, v6 offset:612
	s_wait_dscnt 0x0
	v_pk_add_f16 v8, v1, v7 neg_lo:[0,1] neg_hi:[0,1]
	v_pk_add_f16 v1, v1, v7
	s_delay_alu instid0(VALU_DEP_1) | instskip(SKIP_1) | instid1(VALU_DEP_2)
	v_bfi_b32 v7, 0xffff, v8, v1
	v_bfi_b32 v1, 0xffff, v1, v8
	v_pk_mul_f16 v7, v7, 0.5 op_sel_hi:[1,0]
	s_delay_alu instid0(VALU_DEP_2) | instskip(SKIP_1) | instid1(VALU_DEP_2)
	v_pk_mul_f16 v1, v1, 0.5 op_sel_hi:[1,0]
	s_wait_loadcnt 0x0
	v_pk_mul_f16 v10, v9, v7 op_sel_hi:[0,1]
	s_delay_alu instid0(VALU_DEP_2) | instskip(SKIP_2) | instid1(VALU_DEP_3)
	v_pk_fma_f16 v8, v9, v7, v1 op_sel:[1,0,0]
	v_pk_fma_f16 v11, v9, v7, v1 op_sel:[1,0,0] neg_lo:[1,0,0] neg_hi:[1,0,0]
	v_pk_fma_f16 v1, v9, v7, v1 op_sel:[1,0,0] neg_lo:[0,0,1] neg_hi:[0,0,1]
	v_pk_add_f16 v7, v8, v10 op_sel:[0,1] op_sel_hi:[1,0]
	v_pk_add_f16 v8, v8, v10 op_sel:[0,1] op_sel_hi:[1,0] neg_lo:[0,1] neg_hi:[0,1]
	s_delay_alu instid0(VALU_DEP_4) | instskip(NEXT) | instid1(VALU_DEP_4)
	v_pk_add_f16 v9, v11, v10 op_sel:[0,1] op_sel_hi:[1,0] neg_lo:[0,1] neg_hi:[0,1]
	v_pk_add_f16 v1, v1, v10 op_sel:[0,1] op_sel_hi:[1,0] neg_lo:[0,1] neg_hi:[0,1]
	s_delay_alu instid0(VALU_DEP_3) | instskip(NEXT) | instid1(VALU_DEP_2)
	v_bfi_b32 v7, 0xffff, v7, v8
	v_bfi_b32 v1, 0xffff, v9, v1
	ds_store_b32 v20, v7 offset:476
	ds_store_b32 v6, v1 offset:612
	global_wb scope:SCOPE_SE
	s_wait_dscnt 0x0
	s_barrier_signal -1
	s_barrier_wait -1
	global_inv scope:SCOPE_SE
	s_and_saveexec_b32 s0, vcc_lo
	s_cbranch_execz .LBB0_21
; %bb.19:
	ds_load_2addr_b32 v[6:7], v20 offset1:17
	ds_load_2addr_b32 v[8:9], v20 offset0:34 offset1:51
	ds_load_2addr_b32 v[10:11], v20 offset0:68 offset1:85
	ds_load_2addr_b32 v[12:13], v20 offset0:102 offset1:119
	ds_load_2addr_b32 v[14:15], v20 offset0:136 offset1:153
	ds_load_2addr_b32 v[16:17], v20 offset0:170 offset1:187
	ds_load_2addr_b32 v[18:19], v20 offset0:204 offset1:221
	ds_load_2addr_b32 v[21:22], v20 offset0:238 offset1:255
	v_add_co_u32 v1, vcc_lo, s8, v2
	s_wait_alu 0xfffd
	v_add_co_ci_u32_e32 v2, vcc_lo, s9, v3, vcc_lo
	s_delay_alu instid0(VALU_DEP_2) | instskip(SKIP_1) | instid1(VALU_DEP_2)
	v_add_co_u32 v3, vcc_lo, v1, v4
	s_wait_alu 0xfffd
	v_add_co_ci_u32_e32 v4, vcc_lo, v2, v5, vcc_lo
	v_cmp_eq_u32_e32 vcc_lo, 16, v0
	s_wait_dscnt 0x7
	s_clause 0x1
	global_store_b32 v[3:4], v6, off
	global_store_b32 v[3:4], v7, off offset:68
	s_wait_dscnt 0x6
	s_clause 0x1
	global_store_b32 v[3:4], v8, off offset:136
	global_store_b32 v[3:4], v9, off offset:204
	s_wait_dscnt 0x5
	s_clause 0x1
	global_store_b32 v[3:4], v10, off offset:272
	;; [unrolled: 4-line block ×7, first 2 shown]
	global_store_b32 v[3:4], v22, off offset:1020
	s_and_b32 exec_lo, exec_lo, vcc_lo
	s_cbranch_execz .LBB0_21
; %bb.20:
	ds_load_b32 v0, v20 offset:1024
	s_wait_dscnt 0x0
	global_store_b32 v[1:2], v0, off offset:1088
.LBB0_21:
	s_nop 0
	s_sendmsg sendmsg(MSG_DEALLOC_VGPRS)
	s_endpgm
	.section	.rodata,"a",@progbits
	.p2align	6, 0x0
	.amdhsa_kernel fft_rtc_fwd_len272_factors_16_17_wgs_119_tpt_17_halfLds_half_ip_CI_unitstride_sbrr_R2C_dirReg
		.amdhsa_group_segment_fixed_size 0
		.amdhsa_private_segment_fixed_size 0
		.amdhsa_kernarg_size 88
		.amdhsa_user_sgpr_count 2
		.amdhsa_user_sgpr_dispatch_ptr 0
		.amdhsa_user_sgpr_queue_ptr 0
		.amdhsa_user_sgpr_kernarg_segment_ptr 1
		.amdhsa_user_sgpr_dispatch_id 0
		.amdhsa_user_sgpr_private_segment_size 0
		.amdhsa_wavefront_size32 1
		.amdhsa_uses_dynamic_stack 0
		.amdhsa_enable_private_segment 0
		.amdhsa_system_sgpr_workgroup_id_x 1
		.amdhsa_system_sgpr_workgroup_id_y 0
		.amdhsa_system_sgpr_workgroup_id_z 0
		.amdhsa_system_sgpr_workgroup_info 0
		.amdhsa_system_vgpr_workitem_id 0
		.amdhsa_next_free_vgpr 215
		.amdhsa_next_free_sgpr 32
		.amdhsa_reserve_vcc 1
		.amdhsa_float_round_mode_32 0
		.amdhsa_float_round_mode_16_64 0
		.amdhsa_float_denorm_mode_32 3
		.amdhsa_float_denorm_mode_16_64 3
		.amdhsa_fp16_overflow 0
		.amdhsa_workgroup_processor_mode 1
		.amdhsa_memory_ordered 1
		.amdhsa_forward_progress 0
		.amdhsa_round_robin_scheduling 0
		.amdhsa_exception_fp_ieee_invalid_op 0
		.amdhsa_exception_fp_denorm_src 0
		.amdhsa_exception_fp_ieee_div_zero 0
		.amdhsa_exception_fp_ieee_overflow 0
		.amdhsa_exception_fp_ieee_underflow 0
		.amdhsa_exception_fp_ieee_inexact 0
		.amdhsa_exception_int_div_zero 0
	.end_amdhsa_kernel
	.text
.Lfunc_end0:
	.size	fft_rtc_fwd_len272_factors_16_17_wgs_119_tpt_17_halfLds_half_ip_CI_unitstride_sbrr_R2C_dirReg, .Lfunc_end0-fft_rtc_fwd_len272_factors_16_17_wgs_119_tpt_17_halfLds_half_ip_CI_unitstride_sbrr_R2C_dirReg
                                        ; -- End function
	.section	.AMDGPU.csdata,"",@progbits
; Kernel info:
; codeLenInByte = 12540
; NumSgprs: 34
; NumVgprs: 215
; ScratchSize: 0
; MemoryBound: 0
; FloatMode: 240
; IeeeMode: 1
; LDSByteSize: 0 bytes/workgroup (compile time only)
; SGPRBlocks: 4
; VGPRBlocks: 26
; NumSGPRsForWavesPerEU: 34
; NumVGPRsForWavesPerEU: 215
; Occupancy: 7
; WaveLimiterHint : 1
; COMPUTE_PGM_RSRC2:SCRATCH_EN: 0
; COMPUTE_PGM_RSRC2:USER_SGPR: 2
; COMPUTE_PGM_RSRC2:TRAP_HANDLER: 0
; COMPUTE_PGM_RSRC2:TGID_X_EN: 1
; COMPUTE_PGM_RSRC2:TGID_Y_EN: 0
; COMPUTE_PGM_RSRC2:TGID_Z_EN: 0
; COMPUTE_PGM_RSRC2:TIDIG_COMP_CNT: 0
	.text
	.p2alignl 7, 3214868480
	.fill 96, 4, 3214868480
	.type	__hip_cuid_a4e79a485cbebb4f,@object ; @__hip_cuid_a4e79a485cbebb4f
	.section	.bss,"aw",@nobits
	.globl	__hip_cuid_a4e79a485cbebb4f
__hip_cuid_a4e79a485cbebb4f:
	.byte	0                               ; 0x0
	.size	__hip_cuid_a4e79a485cbebb4f, 1

	.ident	"AMD clang version 19.0.0git (https://github.com/RadeonOpenCompute/llvm-project roc-6.4.0 25133 c7fe45cf4b819c5991fe208aaa96edf142730f1d)"
	.section	".note.GNU-stack","",@progbits
	.addrsig
	.addrsig_sym __hip_cuid_a4e79a485cbebb4f
	.amdgpu_metadata
---
amdhsa.kernels:
  - .args:
      - .actual_access:  read_only
        .address_space:  global
        .offset:         0
        .size:           8
        .value_kind:     global_buffer
      - .offset:         8
        .size:           8
        .value_kind:     by_value
      - .actual_access:  read_only
        .address_space:  global
        .offset:         16
        .size:           8
        .value_kind:     global_buffer
      - .actual_access:  read_only
        .address_space:  global
        .offset:         24
        .size:           8
        .value_kind:     global_buffer
      - .offset:         32
        .size:           8
        .value_kind:     by_value
      - .actual_access:  read_only
        .address_space:  global
        .offset:         40
        .size:           8
        .value_kind:     global_buffer
      - .actual_access:  read_only
        .address_space:  global
        .offset:         48
        .size:           8
        .value_kind:     global_buffer
      - .offset:         56
        .size:           4
        .value_kind:     by_value
      - .actual_access:  read_only
        .address_space:  global
        .offset:         64
        .size:           8
        .value_kind:     global_buffer
      - .actual_access:  read_only
        .address_space:  global
        .offset:         72
        .size:           8
        .value_kind:     global_buffer
      - .address_space:  global
        .offset:         80
        .size:           8
        .value_kind:     global_buffer
    .group_segment_fixed_size: 0
    .kernarg_segment_align: 8
    .kernarg_segment_size: 88
    .language:       OpenCL C
    .language_version:
      - 2
      - 0
    .max_flat_workgroup_size: 119
    .name:           fft_rtc_fwd_len272_factors_16_17_wgs_119_tpt_17_halfLds_half_ip_CI_unitstride_sbrr_R2C_dirReg
    .private_segment_fixed_size: 0
    .sgpr_count:     34
    .sgpr_spill_count: 0
    .symbol:         fft_rtc_fwd_len272_factors_16_17_wgs_119_tpt_17_halfLds_half_ip_CI_unitstride_sbrr_R2C_dirReg.kd
    .uniform_work_group_size: 1
    .uses_dynamic_stack: false
    .vgpr_count:     215
    .vgpr_spill_count: 0
    .wavefront_size: 32
    .workgroup_processor_mode: 1
amdhsa.target:   amdgcn-amd-amdhsa--gfx1201
amdhsa.version:
  - 1
  - 2
...

	.end_amdgpu_metadata
